;; amdgpu-corpus repo=ROCm/rocFFT kind=compiled arch=gfx1201 opt=O3
	.text
	.amdgcn_target "amdgcn-amd-amdhsa--gfx1201"
	.amdhsa_code_object_version 6
	.protected	fft_rtc_back_len1800_factors_10_6_10_3_wgs_180_tpt_180_halfLds_sp_ip_CI_unitstride_sbrr_R2C_dirReg ; -- Begin function fft_rtc_back_len1800_factors_10_6_10_3_wgs_180_tpt_180_halfLds_sp_ip_CI_unitstride_sbrr_R2C_dirReg
	.globl	fft_rtc_back_len1800_factors_10_6_10_3_wgs_180_tpt_180_halfLds_sp_ip_CI_unitstride_sbrr_R2C_dirReg
	.p2align	8
	.type	fft_rtc_back_len1800_factors_10_6_10_3_wgs_180_tpt_180_halfLds_sp_ip_CI_unitstride_sbrr_R2C_dirReg,@function
fft_rtc_back_len1800_factors_10_6_10_3_wgs_180_tpt_180_halfLds_sp_ip_CI_unitstride_sbrr_R2C_dirReg: ; @fft_rtc_back_len1800_factors_10_6_10_3_wgs_180_tpt_180_halfLds_sp_ip_CI_unitstride_sbrr_R2C_dirReg
; %bb.0:
	s_clause 0x2
	s_load_b128 s[4:7], s[0:1], 0x0
	s_load_b64 s[8:9], s[0:1], 0x50
	s_load_b64 s[10:11], s[0:1], 0x18
	v_mul_u32_u24_e32 v1, 0x16d, v0
	v_mov_b32_e32 v3, 0
	s_delay_alu instid0(VALU_DEP_2) | instskip(NEXT) | instid1(VALU_DEP_1)
	v_lshrrev_b32_e32 v1, 16, v1
	v_add_nc_u32_e32 v5, ttmp9, v1
	v_mov_b32_e32 v1, 0
	v_mov_b32_e32 v2, 0
	;; [unrolled: 1-line block ×3, first 2 shown]
	s_wait_kmcnt 0x0
	v_cmp_lt_u64_e64 s2, s[6:7], 2
	s_delay_alu instid0(VALU_DEP_1)
	s_and_b32 vcc_lo, exec_lo, s2
	s_cbranch_vccnz .LBB0_8
; %bb.1:
	s_load_b64 s[2:3], s[0:1], 0x10
	v_mov_b32_e32 v1, 0
	v_mov_b32_e32 v2, 0
	s_add_nc_u64 s[12:13], s[10:11], 8
	s_mov_b64 s[14:15], 1
	s_wait_kmcnt 0x0
	s_add_nc_u64 s[16:17], s[2:3], 8
	s_mov_b32 s3, 0
.LBB0_2:                                ; =>This Inner Loop Header: Depth=1
	s_load_b64 s[18:19], s[16:17], 0x0
                                        ; implicit-def: $vgpr7_vgpr8
	s_mov_b32 s2, exec_lo
	s_wait_kmcnt 0x0
	v_or_b32_e32 v4, s19, v6
	s_delay_alu instid0(VALU_DEP_1)
	v_cmpx_ne_u64_e32 0, v[3:4]
	s_wait_alu 0xfffe
	s_xor_b32 s20, exec_lo, s2
	s_cbranch_execz .LBB0_4
; %bb.3:                                ;   in Loop: Header=BB0_2 Depth=1
	s_cvt_f32_u32 s2, s18
	s_cvt_f32_u32 s21, s19
	s_sub_nc_u64 s[24:25], 0, s[18:19]
	s_wait_alu 0xfffe
	s_delay_alu instid0(SALU_CYCLE_1) | instskip(SKIP_1) | instid1(SALU_CYCLE_2)
	s_fmamk_f32 s2, s21, 0x4f800000, s2
	s_wait_alu 0xfffe
	v_s_rcp_f32 s2, s2
	s_delay_alu instid0(TRANS32_DEP_1) | instskip(SKIP_1) | instid1(SALU_CYCLE_2)
	s_mul_f32 s2, s2, 0x5f7ffffc
	s_wait_alu 0xfffe
	s_mul_f32 s21, s2, 0x2f800000
	s_wait_alu 0xfffe
	s_delay_alu instid0(SALU_CYCLE_2) | instskip(SKIP_1) | instid1(SALU_CYCLE_2)
	s_trunc_f32 s21, s21
	s_wait_alu 0xfffe
	s_fmamk_f32 s2, s21, 0xcf800000, s2
	s_cvt_u32_f32 s23, s21
	s_wait_alu 0xfffe
	s_delay_alu instid0(SALU_CYCLE_1) | instskip(SKIP_1) | instid1(SALU_CYCLE_2)
	s_cvt_u32_f32 s22, s2
	s_wait_alu 0xfffe
	s_mul_u64 s[26:27], s[24:25], s[22:23]
	s_wait_alu 0xfffe
	s_mul_hi_u32 s29, s22, s27
	s_mul_i32 s28, s22, s27
	s_mul_hi_u32 s2, s22, s26
	s_mul_i32 s30, s23, s26
	s_wait_alu 0xfffe
	s_add_nc_u64 s[28:29], s[2:3], s[28:29]
	s_mul_hi_u32 s21, s23, s26
	s_mul_hi_u32 s31, s23, s27
	s_add_co_u32 s2, s28, s30
	s_wait_alu 0xfffe
	s_add_co_ci_u32 s2, s29, s21
	s_mul_i32 s26, s23, s27
	s_add_co_ci_u32 s27, s31, 0
	s_wait_alu 0xfffe
	s_add_nc_u64 s[26:27], s[2:3], s[26:27]
	s_wait_alu 0xfffe
	v_add_co_u32 v4, s2, s22, s26
	s_delay_alu instid0(VALU_DEP_1) | instskip(SKIP_1) | instid1(VALU_DEP_1)
	s_cmp_lg_u32 s2, 0
	s_add_co_ci_u32 s23, s23, s27
	v_readfirstlane_b32 s22, v4
	s_wait_alu 0xfffe
	s_delay_alu instid0(VALU_DEP_1)
	s_mul_u64 s[24:25], s[24:25], s[22:23]
	s_wait_alu 0xfffe
	s_mul_hi_u32 s27, s22, s25
	s_mul_i32 s26, s22, s25
	s_mul_hi_u32 s2, s22, s24
	s_mul_i32 s28, s23, s24
	s_wait_alu 0xfffe
	s_add_nc_u64 s[26:27], s[2:3], s[26:27]
	s_mul_hi_u32 s21, s23, s24
	s_mul_hi_u32 s22, s23, s25
	s_wait_alu 0xfffe
	s_add_co_u32 s2, s26, s28
	s_add_co_ci_u32 s2, s27, s21
	s_mul_i32 s24, s23, s25
	s_add_co_ci_u32 s25, s22, 0
	s_wait_alu 0xfffe
	s_add_nc_u64 s[24:25], s[2:3], s[24:25]
	s_wait_alu 0xfffe
	v_add_co_u32 v4, s2, v4, s24
	s_delay_alu instid0(VALU_DEP_1) | instskip(SKIP_1) | instid1(VALU_DEP_1)
	s_cmp_lg_u32 s2, 0
	s_add_co_ci_u32 s2, s23, s25
	v_mul_hi_u32 v13, v5, v4
	s_wait_alu 0xfffe
	v_mad_co_u64_u32 v[7:8], null, v5, s2, 0
	v_mad_co_u64_u32 v[9:10], null, v6, v4, 0
	;; [unrolled: 1-line block ×3, first 2 shown]
	s_delay_alu instid0(VALU_DEP_3) | instskip(SKIP_1) | instid1(VALU_DEP_4)
	v_add_co_u32 v4, vcc_lo, v13, v7
	s_wait_alu 0xfffd
	v_add_co_ci_u32_e32 v7, vcc_lo, 0, v8, vcc_lo
	s_delay_alu instid0(VALU_DEP_2) | instskip(SKIP_1) | instid1(VALU_DEP_2)
	v_add_co_u32 v4, vcc_lo, v4, v9
	s_wait_alu 0xfffd
	v_add_co_ci_u32_e32 v4, vcc_lo, v7, v10, vcc_lo
	s_wait_alu 0xfffd
	v_add_co_ci_u32_e32 v7, vcc_lo, 0, v12, vcc_lo
	s_delay_alu instid0(VALU_DEP_2) | instskip(SKIP_1) | instid1(VALU_DEP_2)
	v_add_co_u32 v4, vcc_lo, v4, v11
	s_wait_alu 0xfffd
	v_add_co_ci_u32_e32 v9, vcc_lo, 0, v7, vcc_lo
	s_delay_alu instid0(VALU_DEP_2) | instskip(SKIP_1) | instid1(VALU_DEP_3)
	v_mul_lo_u32 v10, s19, v4
	v_mad_co_u64_u32 v[7:8], null, s18, v4, 0
	v_mul_lo_u32 v11, s18, v9
	s_delay_alu instid0(VALU_DEP_2) | instskip(NEXT) | instid1(VALU_DEP_2)
	v_sub_co_u32 v7, vcc_lo, v5, v7
	v_add3_u32 v8, v8, v11, v10
	s_delay_alu instid0(VALU_DEP_1) | instskip(SKIP_1) | instid1(VALU_DEP_1)
	v_sub_nc_u32_e32 v10, v6, v8
	s_wait_alu 0xfffd
	v_subrev_co_ci_u32_e64 v10, s2, s19, v10, vcc_lo
	v_add_co_u32 v11, s2, v4, 2
	s_wait_alu 0xf1ff
	v_add_co_ci_u32_e64 v12, s2, 0, v9, s2
	v_sub_co_u32 v13, s2, v7, s18
	v_sub_co_ci_u32_e32 v8, vcc_lo, v6, v8, vcc_lo
	s_wait_alu 0xf1ff
	v_subrev_co_ci_u32_e64 v10, s2, 0, v10, s2
	s_delay_alu instid0(VALU_DEP_3) | instskip(NEXT) | instid1(VALU_DEP_3)
	v_cmp_le_u32_e32 vcc_lo, s18, v13
	v_cmp_eq_u32_e64 s2, s19, v8
	s_wait_alu 0xfffd
	v_cndmask_b32_e64 v13, 0, -1, vcc_lo
	v_cmp_le_u32_e32 vcc_lo, s19, v10
	s_wait_alu 0xfffd
	v_cndmask_b32_e64 v14, 0, -1, vcc_lo
	v_cmp_le_u32_e32 vcc_lo, s18, v7
	;; [unrolled: 3-line block ×3, first 2 shown]
	s_wait_alu 0xfffd
	v_cndmask_b32_e64 v15, 0, -1, vcc_lo
	v_cmp_eq_u32_e32 vcc_lo, s19, v10
	s_wait_alu 0xf1ff
	s_delay_alu instid0(VALU_DEP_2)
	v_cndmask_b32_e64 v7, v15, v7, s2
	s_wait_alu 0xfffd
	v_cndmask_b32_e32 v10, v14, v13, vcc_lo
	v_add_co_u32 v13, vcc_lo, v4, 1
	s_wait_alu 0xfffd
	v_add_co_ci_u32_e32 v14, vcc_lo, 0, v9, vcc_lo
	s_delay_alu instid0(VALU_DEP_3) | instskip(SKIP_2) | instid1(VALU_DEP_3)
	v_cmp_ne_u32_e32 vcc_lo, 0, v10
	s_wait_alu 0xfffd
	v_cndmask_b32_e32 v10, v13, v11, vcc_lo
	v_cndmask_b32_e32 v8, v14, v12, vcc_lo
	v_cmp_ne_u32_e32 vcc_lo, 0, v7
	s_wait_alu 0xfffd
	s_delay_alu instid0(VALU_DEP_2)
	v_dual_cndmask_b32 v7, v4, v10 :: v_dual_cndmask_b32 v8, v9, v8
.LBB0_4:                                ;   in Loop: Header=BB0_2 Depth=1
	s_wait_alu 0xfffe
	s_and_not1_saveexec_b32 s2, s20
	s_cbranch_execz .LBB0_6
; %bb.5:                                ;   in Loop: Header=BB0_2 Depth=1
	v_cvt_f32_u32_e32 v4, s18
	s_sub_co_i32 s20, 0, s18
	s_delay_alu instid0(VALU_DEP_1) | instskip(NEXT) | instid1(TRANS32_DEP_1)
	v_rcp_iflag_f32_e32 v4, v4
	v_mul_f32_e32 v4, 0x4f7ffffe, v4
	s_delay_alu instid0(VALU_DEP_1) | instskip(SKIP_1) | instid1(VALU_DEP_1)
	v_cvt_u32_f32_e32 v4, v4
	s_wait_alu 0xfffe
	v_mul_lo_u32 v7, s20, v4
	s_delay_alu instid0(VALU_DEP_1) | instskip(NEXT) | instid1(VALU_DEP_1)
	v_mul_hi_u32 v7, v4, v7
	v_add_nc_u32_e32 v4, v4, v7
	s_delay_alu instid0(VALU_DEP_1) | instskip(NEXT) | instid1(VALU_DEP_1)
	v_mul_hi_u32 v4, v5, v4
	v_mul_lo_u32 v7, v4, s18
	v_add_nc_u32_e32 v8, 1, v4
	s_delay_alu instid0(VALU_DEP_2) | instskip(NEXT) | instid1(VALU_DEP_1)
	v_sub_nc_u32_e32 v7, v5, v7
	v_subrev_nc_u32_e32 v9, s18, v7
	v_cmp_le_u32_e32 vcc_lo, s18, v7
	s_wait_alu 0xfffd
	s_delay_alu instid0(VALU_DEP_2) | instskip(NEXT) | instid1(VALU_DEP_1)
	v_dual_cndmask_b32 v7, v7, v9 :: v_dual_cndmask_b32 v4, v4, v8
	v_cmp_le_u32_e32 vcc_lo, s18, v7
	s_delay_alu instid0(VALU_DEP_2) | instskip(SKIP_1) | instid1(VALU_DEP_1)
	v_add_nc_u32_e32 v8, 1, v4
	s_wait_alu 0xfffd
	v_dual_cndmask_b32 v7, v4, v8 :: v_dual_mov_b32 v8, v3
.LBB0_6:                                ;   in Loop: Header=BB0_2 Depth=1
	s_wait_alu 0xfffe
	s_or_b32 exec_lo, exec_lo, s2
	s_load_b64 s[20:21], s[12:13], 0x0
	s_delay_alu instid0(VALU_DEP_1)
	v_mul_lo_u32 v4, v8, s18
	v_mul_lo_u32 v11, v7, s19
	v_mad_co_u64_u32 v[9:10], null, v7, s18, 0
	s_add_nc_u64 s[14:15], s[14:15], 1
	s_add_nc_u64 s[12:13], s[12:13], 8
	s_wait_alu 0xfffe
	v_cmp_ge_u64_e64 s2, s[14:15], s[6:7]
	s_add_nc_u64 s[16:17], s[16:17], 8
	s_delay_alu instid0(VALU_DEP_2) | instskip(NEXT) | instid1(VALU_DEP_3)
	v_add3_u32 v4, v10, v11, v4
	v_sub_co_u32 v5, vcc_lo, v5, v9
	s_wait_alu 0xfffd
	s_delay_alu instid0(VALU_DEP_2) | instskip(SKIP_3) | instid1(VALU_DEP_2)
	v_sub_co_ci_u32_e32 v4, vcc_lo, v6, v4, vcc_lo
	s_and_b32 vcc_lo, exec_lo, s2
	s_wait_kmcnt 0x0
	v_mul_lo_u32 v6, s21, v5
	v_mul_lo_u32 v4, s20, v4
	v_mad_co_u64_u32 v[1:2], null, s20, v5, v[1:2]
	s_delay_alu instid0(VALU_DEP_1)
	v_add3_u32 v2, v6, v2, v4
	s_wait_alu 0xfffe
	s_cbranch_vccnz .LBB0_9
; %bb.7:                                ;   in Loop: Header=BB0_2 Depth=1
	v_dual_mov_b32 v5, v7 :: v_dual_mov_b32 v6, v8
	s_branch .LBB0_2
.LBB0_8:
	v_dual_mov_b32 v8, v6 :: v_dual_mov_b32 v7, v5
.LBB0_9:
	s_lshl_b64 s[2:3], s[6:7], 3
	v_mul_hi_u32 v3, 0x16c16c2, v0
	s_wait_alu 0xfffe
	s_add_nc_u64 s[2:3], s[10:11], s[2:3]
	s_load_b64 s[2:3], s[2:3], 0x0
	s_load_b64 s[0:1], s[0:1], 0x20
	s_delay_alu instid0(VALU_DEP_1) | instskip(NEXT) | instid1(VALU_DEP_1)
	v_mul_u32_u24_e32 v3, 0xb4, v3
	v_sub_nc_u32_e32 v12, v0, v3
	s_delay_alu instid0(VALU_DEP_1)
	v_add_nc_u32_e32 v16, 0xb4, v12
	s_wait_kmcnt 0x0
	v_mul_lo_u32 v4, s2, v8
	v_mul_lo_u32 v5, s3, v7
	v_mad_co_u64_u32 v[1:2], null, s2, v7, v[1:2]
	v_cmp_gt_u64_e32 vcc_lo, s[0:1], v[7:8]
	v_cmp_le_u64_e64 s0, s[0:1], v[7:8]
	s_delay_alu instid0(VALU_DEP_3) | instskip(NEXT) | instid1(VALU_DEP_2)
	v_add3_u32 v2, v5, v2, v4
	s_and_saveexec_b32 s1, s0
	s_wait_alu 0xfffe
	s_xor_b32 s0, exec_lo, s1
; %bb.10:
	v_add_nc_u32_e32 v16, 0xb4, v12
; %bb.11:
	s_wait_alu 0xfffe
	s_or_saveexec_b32 s1, s0
	v_lshlrev_b64_e32 v[14:15], 3, v[1:2]
	v_lshl_add_u32 v31, v12, 3, 0
	s_wait_alu 0xfffe
	s_xor_b32 exec_lo, exec_lo, s1
	s_cbranch_execz .LBB0_13
; %bb.12:
	s_delay_alu instid0(VALU_DEP_1) | instskip(SKIP_3) | instid1(VALU_DEP_3)
	v_dual_mov_b32 v13, 0 :: v_dual_add_nc_u32 v26, 0x2000, v31
	v_add_co_u32 v2, s0, s8, v14
	s_wait_alu 0xf1ff
	v_add_co_ci_u32_e64 v3, s0, s9, v15, s0
	v_lshlrev_b64_e32 v[0:1], 3, v[12:13]
	v_add_nc_u32_e32 v13, 0xa00, v31
	v_add_nc_u32_e32 v25, 0x1600, v31
	v_add_nc_u32_e32 v27, 0x2c00, v31
	s_delay_alu instid0(VALU_DEP_4)
	v_add_co_u32 v0, s0, v2, v0
	s_wait_alu 0xf1ff
	v_add_co_ci_u32_e64 v1, s0, v3, v1, s0
	s_clause 0x9
	global_load_b64 v[2:3], v[0:1], off
	global_load_b64 v[4:5], v[0:1], off offset:1440
	global_load_b64 v[6:7], v[0:1], off offset:2880
	;; [unrolled: 1-line block ×9, first 2 shown]
	s_wait_loadcnt 0x8
	ds_store_2addr_b64 v31, v[2:3], v[4:5] offset1:180
	s_wait_loadcnt 0x6
	ds_store_2addr_b64 v13, v[6:7], v[8:9] offset0:40 offset1:220
	s_wait_loadcnt 0x4
	ds_store_2addr_b64 v25, v[10:11], v[17:18] offset0:16 offset1:196
	s_wait_loadcnt 0x2
	ds_store_2addr_b64 v26, v[19:20], v[21:22] offset0:56 offset1:236
	s_wait_loadcnt 0x0
	ds_store_2addr_b64 v27, v[23:24], v[0:1] offset0:32 offset1:212
.LBB0_13:
	s_or_b32 exec_lo, exec_lo, s1
	v_add_nc_u32_e32 v4, 0xa00, v31
	v_add_nc_u32_e32 v8, 0x1600, v31
	;; [unrolled: 1-line block ×4, first 2 shown]
	global_wb scope:SCOPE_SE
	s_wait_dscnt 0x0
	s_barrier_signal -1
	s_barrier_wait -1
	global_inv scope:SCOPE_SE
	ds_load_2addr_b64 v[0:3], v31 offset1:180
	ds_load_2addr_b64 v[4:7], v4 offset0:40 offset1:220
	ds_load_2addr_b64 v[8:11], v8 offset0:16 offset1:196
	;; [unrolled: 1-line block ×4, first 2 shown]
	global_wb scope:SCOPE_SE
	s_wait_dscnt 0x0
	s_barrier_signal -1
	s_barrier_wait -1
	global_inv scope:SCOPE_SE
	v_cmp_gt_u32_e64 s0, 0x78, v12
	v_add_f32_e32 v25, v0, v4
	v_sub_f32_e32 v29, v4, v8
	v_add_f32_e32 v26, v8, v17
	v_sub_f32_e32 v30, v21, v17
	s_delay_alu instid0(VALU_DEP_4)
	v_dual_add_f32 v32, v4, v21 :: v_dual_add_f32 v25, v25, v8
	v_sub_f32_e32 v27, v5, v22
	v_dual_sub_f32 v28, v9, v18 :: v_dual_sub_f32 v33, v8, v4
	v_sub_f32_e32 v34, v17, v21
	v_dual_sub_f32 v4, v4, v21 :: v_dual_add_f32 v29, v29, v30
	v_fma_f32 v26, -0.5, v26, v0
	v_add_f32_e32 v35, v1, v5
	v_fma_f32 v30, -0.5, v32, v0
	v_add_f32_e32 v36, v9, v18
	v_add_f32_e32 v0, v33, v34
	v_fmamk_f32 v34, v27, 0xbf737871, v26
	s_delay_alu instid0(VALU_DEP_4) | instskip(NEXT) | instid1(VALU_DEP_4)
	v_dual_add_f32 v32, v35, v9 :: v_dual_fmamk_f32 v35, v28, 0x3f737871, v30
	v_fma_f32 v33, -0.5, v36, v1
	v_dual_add_f32 v25, v25, v17 :: v_dual_fmac_f32 v26, 0x3f737871, v27
	v_fmac_f32_e32 v30, 0xbf737871, v28
	s_delay_alu instid0(VALU_DEP_4) | instskip(NEXT) | instid1(VALU_DEP_3)
	v_dual_fmac_f32 v35, 0xbf167918, v27 :: v_dual_fmac_f32 v34, 0xbf167918, v28
	v_add_f32_e32 v25, v25, v21
	v_dual_add_f32 v21, v5, v22 :: v_dual_sub_f32 v8, v8, v17
	s_delay_alu instid0(VALU_DEP_4) | instskip(NEXT) | instid1(VALU_DEP_4)
	v_fmac_f32_e32 v30, 0x3f167918, v27
	v_dual_fmac_f32 v35, 0x3e9e377a, v0 :: v_dual_add_f32 v32, v32, v18
	v_dual_sub_f32 v17, v5, v9 :: v_dual_fmac_f32 v26, 0x3f167918, v28
	v_dual_fmamk_f32 v27, v4, 0x3f737871, v33 :: v_dual_sub_f32 v28, v22, v18
	v_fmac_f32_e32 v34, 0x3e9e377a, v29
	v_fmac_f32_e32 v33, 0xbf737871, v4
	v_sub_f32_e32 v5, v9, v5
	v_sub_f32_e32 v9, v18, v22
	v_fmac_f32_e32 v27, 0x3f167918, v8
	v_fmac_f32_e32 v30, 0x3e9e377a, v0
	v_dual_add_f32 v0, v17, v28 :: v_dual_add_f32 v17, v2, v6
	v_fmac_f32_e32 v26, 0x3e9e377a, v29
	v_fma_f32 v29, -0.5, v21, v1
	v_fmac_f32_e32 v33, 0xbf167918, v8
	v_add_f32_e32 v5, v5, v9
	v_add_f32_e32 v9, v10, v19
	v_fmac_f32_e32 v27, 0x3e9e377a, v0
	v_fmamk_f32 v28, v8, 0xbf737871, v29
	v_dual_fmac_f32 v29, 0x3f737871, v8 :: v_dual_add_f32 v8, v17, v10
	v_add_f32_e32 v1, v32, v22
	s_delay_alu instid0(VALU_DEP_3) | instskip(NEXT) | instid1(VALU_DEP_3)
	v_dual_sub_f32 v21, v10, v6 :: v_dual_fmac_f32 v28, 0x3f167918, v4
	v_dual_fmac_f32 v33, 0x3e9e377a, v0 :: v_dual_add_f32 v0, v8, v19
	s_delay_alu instid0(VALU_DEP_4) | instskip(SKIP_1) | instid1(VALU_DEP_3)
	v_dual_fmac_f32 v29, 0xbf167918, v4 :: v_dual_add_f32 v8, v6, v23
	v_fma_f32 v4, -0.5, v9, v2
	v_dual_sub_f32 v9, v7, v24 :: v_dual_add_f32 v0, v0, v23
	v_fmac_f32_e32 v28, 0x3e9e377a, v5
	s_delay_alu instid0(VALU_DEP_4) | instskip(NEXT) | instid1(VALU_DEP_3)
	v_fmac_f32_e32 v29, 0x3e9e377a, v5
	v_dual_sub_f32 v5, v11, v20 :: v_dual_fmamk_f32 v18, v9, 0xbf737871, v4
	v_fma_f32 v8, -0.5, v8, v2
	v_dual_sub_f32 v2, v6, v10 :: v_dual_sub_f32 v17, v23, v19
	v_fmac_f32_e32 v4, 0x3f737871, v9
	s_delay_alu instid0(VALU_DEP_4) | instskip(NEXT) | instid1(VALU_DEP_4)
	v_fmac_f32_e32 v18, 0xbf167918, v5
	v_fmamk_f32 v22, v5, 0x3f737871, v8
	v_sub_f32_e32 v10, v10, v19
	v_add_f32_e32 v2, v2, v17
	v_fmac_f32_e32 v4, 0x3f167918, v5
	v_dual_fmac_f32 v8, 0xbf737871, v5 :: v_dual_add_f32 v5, v11, v20
	v_fmac_f32_e32 v22, 0xbf167918, v9
	s_delay_alu instid0(VALU_DEP_4) | instskip(SKIP_1) | instid1(VALU_DEP_4)
	v_fmac_f32_e32 v18, 0x3e9e377a, v2
	v_sub_f32_e32 v6, v6, v23
	v_fmac_f32_e32 v8, 0x3f167918, v9
	v_fma_f32 v5, -0.5, v5, v3
	v_dual_add_f32 v9, v3, v7 :: v_dual_fmac_f32 v4, 0x3e9e377a, v2
	v_add_f32_e32 v2, v7, v24
	s_delay_alu instid0(VALU_DEP_3) | instskip(SKIP_1) | instid1(VALU_DEP_3)
	v_dual_sub_f32 v32, v19, v23 :: v_dual_fmamk_f32 v23, v6, 0x3f737871, v5
	v_sub_f32_e32 v19, v20, v24
	v_fmac_f32_e32 v3, -0.5, v2
	s_delay_alu instid0(VALU_DEP_3) | instskip(NEXT) | instid1(VALU_DEP_2)
	v_add_f32_e32 v17, v21, v32
	v_fmamk_f32 v21, v10, 0xbf737871, v3
	v_dual_fmac_f32 v3, 0x3f737871, v10 :: v_dual_sub_f32 v2, v7, v11
	s_delay_alu instid0(VALU_DEP_3) | instskip(NEXT) | instid1(VALU_DEP_3)
	v_dual_sub_f32 v7, v11, v7 :: v_dual_fmac_f32 v22, 0x3e9e377a, v17
	v_fmac_f32_e32 v21, 0x3f167918, v6
	v_fmac_f32_e32 v23, 0x3f167918, v10
	v_dual_fmac_f32 v8, 0x3e9e377a, v17 :: v_dual_sub_f32 v17, v24, v20
	s_delay_alu instid0(VALU_DEP_4) | instskip(SKIP_2) | instid1(VALU_DEP_1)
	v_add_f32_e32 v7, v7, v19
	v_fmac_f32_e32 v3, 0xbf167918, v6
	v_dual_fmac_f32 v5, 0xbf737871, v6 :: v_dual_add_f32 v6, v9, v11
	v_dual_add_f32 v2, v2, v17 :: v_dual_fmac_f32 v5, 0xbf167918, v10
	s_delay_alu instid0(VALU_DEP_2) | instskip(NEXT) | instid1(VALU_DEP_2)
	v_dual_fmac_f32 v21, 0x3e9e377a, v7 :: v_dual_add_f32 v6, v6, v20
	v_fmac_f32_e32 v23, 0x3e9e377a, v2
	v_fmac_f32_e32 v3, 0x3e9e377a, v7
	s_delay_alu instid0(VALU_DEP_4) | instskip(NEXT) | instid1(VALU_DEP_3)
	v_dual_fmac_f32 v5, 0x3e9e377a, v2 :: v_dual_add_f32 v2, v25, v0
	v_dual_add_f32 v24, v6, v24 :: v_dual_mul_f32 v7, 0xbf167918, v23
	s_delay_alu instid0(VALU_DEP_3) | instskip(SKIP_1) | instid1(VALU_DEP_4)
	v_mul_f32_e32 v39, 0xbe9e377a, v3
	v_dual_mul_f32 v9, 0xbf737871, v21 :: v_dual_mul_f32 v32, 0xbf737871, v3
	v_mul_f32_e32 v36, 0xbf167918, v5
	v_mul_f32_e32 v5, 0xbf4f1bbd, v5
	s_delay_alu instid0(VALU_DEP_4) | instskip(SKIP_3) | instid1(VALU_DEP_4)
	v_fmac_f32_e32 v39, 0x3f737871, v8
	v_fmac_f32_e32 v7, 0x3f4f1bbd, v18
	v_mul_f32_e32 v38, 0x3e9e377a, v21
	v_fmac_f32_e32 v36, 0xbf4f1bbd, v4
	v_dual_fmac_f32 v5, 0x3f167918, v4 :: v_dual_add_f32 v20, v29, v39
	s_delay_alu instid0(VALU_DEP_4) | instskip(SKIP_3) | instid1(VALU_DEP_4)
	v_dual_fmac_f32 v9, 0x3e9e377a, v22 :: v_dual_add_f32 v10, v34, v7
	v_fmac_f32_e32 v32, 0xbe9e377a, v8
	v_mul_f32_e32 v37, 0x3f167918, v18
	v_dual_add_f32 v21, v26, v36 :: v_dual_fmac_f32 v38, 0x3f737871, v22
	v_add_f32_e32 v17, v35, v9
	s_delay_alu instid0(VALU_DEP_4) | instskip(NEXT) | instid1(VALU_DEP_4)
	v_dual_add_f32 v19, v30, v32 :: v_dual_add_f32 v22, v33, v5
	v_dual_fmac_f32 v37, 0x3f4f1bbd, v23 :: v_dual_sub_f32 v8, v35, v9
	v_add_f32_e32 v3, v1, v24
	v_sub_f32_e32 v23, v25, v0
	v_mad_u32_u24 v25, 0x48, v12, v31
	s_delay_alu instid0(VALU_DEP_4)
	v_dual_add_f32 v11, v27, v37 :: v_dual_sub_f32 v6, v30, v32
	v_add_f32_e32 v18, v28, v38
	v_dual_sub_f32 v24, v1, v24 :: v_dual_sub_f32 v9, v28, v38
	v_sub_f32_e32 v0, v34, v7
	v_dual_sub_f32 v4, v26, v36 :: v_dual_sub_f32 v1, v27, v37
	v_sub_f32_e32 v7, v29, v39
	v_sub_f32_e32 v5, v33, v5
	ds_store_2addr_b64 v25, v[2:3], v[10:11] offset1:1
	ds_store_2addr_b64 v25, v[17:18], v[19:20] offset0:2 offset1:3
	ds_store_2addr_b64 v25, v[21:22], v[23:24] offset0:4 offset1:5
	;; [unrolled: 1-line block ×4, first 2 shown]
	global_wb scope:SCOPE_SE
	s_wait_dscnt 0x0
	s_barrier_signal -1
	s_barrier_wait -1
	global_inv scope:SCOPE_SE
	ds_load_b64 v[2:3], v31
	ds_load_b64 v[23:24], v31 offset:2400
	ds_load_b64 v[21:22], v31 offset:4800
	;; [unrolled: 1-line block ×5, first 2 shown]
	v_lshl_add_u32 v32, v16, 3, 0
                                        ; implicit-def: $vgpr26
                                        ; implicit-def: $vgpr28
	s_and_saveexec_b32 s1, s0
	s_cbranch_execz .LBB0_15
; %bb.14:
	ds_load_2addr_b32 v[4:5], v13 offset0:112 offset1:113
	ds_load_b64 v[0:1], v32
	ds_load_b64 v[8:9], v31 offset:3840
	ds_load_b64 v[6:7], v31 offset:6240
	ds_load_b64 v[27:28], v31 offset:11040
	ds_load_b64 v[25:26], v31 offset:13440
.LBB0_15:
	s_wait_alu 0xfffe
	s_or_b32 exec_lo, exec_lo, s1
	v_and_b32_e32 v13, 0xff, v12
	v_and_b32_e32 v30, 0xffff, v16
	s_delay_alu instid0(VALU_DEP_2) | instskip(NEXT) | instid1(VALU_DEP_1)
	v_mul_lo_u16 v29, 0xcd, v13
	v_lshrrev_b16 v33, 11, v29
	s_delay_alu instid0(VALU_DEP_3) | instskip(NEXT) | instid1(VALU_DEP_2)
	v_mul_u32_u24_e32 v29, 0xcccd, v30
	v_mul_lo_u16 v34, v33, 10
	s_delay_alu instid0(VALU_DEP_2) | instskip(NEXT) | instid1(VALU_DEP_2)
	v_lshrrev_b32_e32 v30, 19, v29
	v_sub_nc_u16 v29, v12, v34
	s_delay_alu instid0(VALU_DEP_2) | instskip(NEXT) | instid1(VALU_DEP_2)
	v_mul_lo_u16 v34, v30, 10
	v_and_b32_e32 v35, 0xff, v29
	s_delay_alu instid0(VALU_DEP_2) | instskip(NEXT) | instid1(VALU_DEP_2)
	v_sub_nc_u16 v29, v16, v34
	v_mul_u32_u24_e32 v34, 5, v35
	s_delay_alu instid0(VALU_DEP_2) | instskip(NEXT) | instid1(VALU_DEP_2)
	v_and_b32_e32 v29, 0xffff, v29
	v_lshlrev_b32_e32 v34, 3, v34
	s_delay_alu instid0(VALU_DEP_2)
	v_mul_u32_u24_e32 v36, 5, v29
	s_clause 0x1
	global_load_b128 v[38:41], v34, s[4:5]
	global_load_b128 v[42:45], v34, s[4:5] offset:16
	v_lshlrev_b32_e32 v36, 3, v36
	s_wait_loadcnt_dscnt 0x103
	v_dual_mul_f32 v59, v39, v24 :: v_dual_mul_f32 v60, v41, v22
	v_mul_f32_e32 v41, v41, v21
	s_clause 0x3
	global_load_b64 v[54:55], v34, s[4:5] offset:32
	global_load_b128 v[46:49], v36, s[4:5]
	global_load_b128 v[50:53], v36, s[4:5] offset:16
	global_load_b64 v[56:57], v36, s[4:5] offset:32
	s_wait_loadcnt_dscnt 0x401
	v_dual_mul_f32 v62, v45, v18 :: v_dual_and_b32 v33, 0xffff, v33
	v_dual_mul_f32 v61, v43, v20 :: v_dual_lshlrev_b32 v34, 3, v35
	v_mul_f32_e32 v43, v43, v19
	s_delay_alu instid0(VALU_DEP_3)
	v_mul_u32_u24_e32 v33, 0x1e0, v33
	v_mul_f32_e32 v39, v39, v23
	global_wb scope:SCOPE_SE
	s_wait_loadcnt_dscnt 0x0
	s_barrier_signal -1
	s_barrier_wait -1
	v_add3_u32 v58, 0, v33, v34
	global_inv scope:SCOPE_SE
	v_fmac_f32_e32 v60, v40, v21
	v_fma_f32 v21, v40, v22, -v41
	v_fmac_f32_e32 v62, v44, v17
	s_delay_alu instid0(VALU_DEP_1) | instskip(NEXT) | instid1(VALU_DEP_1)
	v_dual_mul_f32 v45, v45, v17 :: v_dual_sub_f32 v22, v60, v62
	v_fma_f32 v17, v44, v18, -v45
	s_delay_alu instid0(VALU_DEP_1) | instskip(SKIP_3) | instid1(VALU_DEP_4)
	v_dual_sub_f32 v18, v21, v17 :: v_dual_mul_f32 v63, v55, v11
	v_mul_f32_e32 v55, v55, v10
	v_dual_mul_f32 v37, v5, v51 :: v_dual_mul_f32 v34, v26, v57
	v_dual_mul_f32 v35, v9, v47 :: v_dual_mul_f32 v36, v7, v49
	v_fmac_f32_e32 v63, v54, v10
	s_delay_alu instid0(VALU_DEP_4) | instskip(NEXT) | instid1(VALU_DEP_4)
	v_fma_f32 v10, v54, v11, -v55
	v_dual_fmac_f32 v34, v25, v56 :: v_dual_fmac_f32 v61, v42, v19
	v_fma_f32 v19, v42, v20, -v43
	v_mul_f32_e32 v49, v6, v49
	v_dual_add_f32 v20, v3, v21 :: v_dual_fmac_f32 v37, v4, v50
	v_dual_fmac_f32 v36, v6, v48 :: v_dual_mul_f32 v47, v8, v47
	s_delay_alu instid0(VALU_DEP_3) | instskip(NEXT) | instid1(VALU_DEP_3)
	v_fma_f32 v6, v7, v48, -v49
	v_dual_fmac_f32 v59, v38, v23 :: v_dual_add_f32 v42, v37, v34
	v_mul_f32_e32 v33, v28, v53
	v_mul_f32_e32 v53, v27, v53
	;; [unrolled: 1-line block ×3, first 2 shown]
	v_fma_f32 v23, v38, v24, -v39
	v_add_f32_e32 v11, v60, v62
	v_add_f32_e32 v21, v21, v17
	v_fma_f32 v4, v28, v52, -v53
	s_delay_alu instid0(VALU_DEP_1)
	v_dual_sub_f32 v28, v61, v63 :: v_dual_sub_f32 v39, v6, v4
	v_fmac_f32_e32 v35, v8, v46
	v_fma_f32 v8, v9, v46, -v47
	v_fma_f32 v47, -0.5, v11, v2
	v_add_f32_e32 v11, v20, v17
	v_add_f32_e32 v9, v2, v60
	v_fmac_f32_e32 v33, v27, v52
	v_add_f32_e32 v27, v23, v19
	v_dual_mul_f32 v57, v25, v57 :: v_dual_add_f32 v40, v6, v4
	s_delay_alu instid0(VALU_DEP_4) | instskip(NEXT) | instid1(VALU_DEP_4)
	v_add_f32_e32 v46, v9, v62
	v_add_f32_e32 v38, v36, v33
	;; [unrolled: 1-line block ×3, first 2 shown]
	v_fma_f32 v7, v5, v50, -v51
	v_fma_f32 v5, v26, v56, -v57
	v_sub_f32_e32 v26, v19, v10
	v_fma_f32 v2, -0.5, v38, v0
	v_fma_f32 v9, -0.5, v40, v1
	s_delay_alu instid0(VALU_DEP_4) | instskip(NEXT) | instid1(VALU_DEP_1)
	v_dual_add_f32 v44, v7, v5 :: v_dual_add_f32 v25, v61, v63
	v_fma_f32 v20, -0.5, v44, v8
	v_add_f32_e32 v19, v19, v10
	s_delay_alu instid0(VALU_DEP_3) | instskip(NEXT) | instid1(VALU_DEP_2)
	v_dual_fmac_f32 v59, -0.5, v25 :: v_dual_add_f32 v10, v27, v10
	v_fmac_f32_e32 v23, -0.5, v19
	s_delay_alu instid0(VALU_DEP_2) | instskip(SKIP_1) | instid1(VALU_DEP_4)
	v_fmamk_f32 v38, v26, 0xbf5db3d7, v59
	v_fmac_f32_e32 v59, 0x3f5db3d7, v26
	v_dual_fmac_f32 v3, -0.5, v21 :: v_dual_add_f32 v26, v11, v10
	s_delay_alu instid0(VALU_DEP_4)
	v_fmamk_f32 v21, v28, 0x3f5db3d7, v23
	v_fmac_f32_e32 v23, 0xbf5db3d7, v28
	v_sub_f32_e32 v41, v36, v33
	v_sub_f32_e32 v43, v7, v5
	v_sub_f32_e32 v28, v11, v10
	v_fmamk_f32 v10, v39, 0xbf5db3d7, v2
	v_mul_f32_e32 v44, 0xbf5db3d7, v23
	v_fma_f32 v19, -0.5, v42, v35
	v_fmamk_f32 v42, v18, 0xbf5db3d7, v47
	v_dual_fmac_f32 v47, 0x3f5db3d7, v18 :: v_dual_fmac_f32 v2, 0x3f5db3d7, v39
	s_delay_alu instid0(VALU_DEP_4) | instskip(SKIP_3) | instid1(VALU_DEP_4)
	v_dual_sub_f32 v45, v37, v34 :: v_dual_fmac_f32 v44, -0.5, v59
	v_add_f32_e32 v17, v24, v63
	v_fmamk_f32 v11, v41, 0x3f5db3d7, v9
	v_fmac_f32_e32 v9, 0xbf5db3d7, v41
	v_fmamk_f32 v24, v45, 0x3f5db3d7, v20
	s_delay_alu instid0(VALU_DEP_4)
	v_dual_add_f32 v40, v47, v44 :: v_dual_add_f32 v25, v46, v17
	v_dual_sub_f32 v27, v46, v17 :: v_dual_mul_f32 v46, -0.5, v23
	v_fmamk_f32 v17, v43, 0xbf5db3d7, v19
	v_fmac_f32_e32 v19, 0x3f5db3d7, v43
	v_mul_f32_e32 v43, 0xbf5db3d7, v21
	v_dual_fmamk_f32 v18, v22, 0x3f5db3d7, v3 :: v_dual_mul_f32 v23, 0.5, v24
	s_delay_alu instid0(VALU_DEP_2) | instskip(SKIP_4) | instid1(VALU_DEP_3)
	v_fmac_f32_e32 v43, 0.5, v38
	v_dual_fmac_f32 v3, 0xbf5db3d7, v22 :: v_dual_mul_f32 v22, 0xbf5db3d7, v24
	v_fmac_f32_e32 v20, 0xbf5db3d7, v45
	v_mul_f32_e32 v45, 0.5, v21
	v_fmac_f32_e32 v23, 0x3f5db3d7, v17
	v_dual_fmac_f32 v22, 0.5, v17 :: v_dual_mul_f32 v21, 0xbf5db3d7, v20
	s_delay_alu instid0(VALU_DEP_3) | instskip(SKIP_2) | instid1(VALU_DEP_4)
	v_dual_mul_f32 v24, -0.5, v20 :: v_dual_fmac_f32 v45, 0x3f5db3d7, v38
	v_add_f32_e32 v38, v42, v43
	v_sub_f32_e32 v42, v42, v43
	v_fmac_f32_e32 v21, -0.5, v19
	s_delay_alu instid0(VALU_DEP_4) | instskip(SKIP_4) | instid1(VALU_DEP_4)
	v_fmac_f32_e32 v24, 0x3f5db3d7, v19
	v_dual_fmac_f32 v46, 0x3f5db3d7, v59 :: v_dual_add_f32 v39, v18, v45
	v_sub_f32_e32 v43, v18, v45
	v_sub_f32_e32 v17, v10, v22
	v_dual_sub_f32 v19, v2, v21 :: v_dual_sub_f32 v18, v11, v23
	v_dual_sub_f32 v20, v9, v24 :: v_dual_add_f32 v41, v3, v46
	v_sub_f32_e32 v44, v47, v44
	v_sub_f32_e32 v45, v3, v46
	ds_store_2addr_b64 v58, v[25:26], v[38:39] offset1:10
	ds_store_2addr_b64 v58, v[40:41], v[27:28] offset0:20 offset1:30
	ds_store_2addr_b64 v58, v[42:43], v[44:45] offset0:40 offset1:50
	s_and_saveexec_b32 s1, s0
	s_cbranch_execz .LBB0_17
; %bb.16:
	v_dual_add_f32 v1, v1, v6 :: v_dual_add_f32 v0, v0, v36
	v_dual_add_f32 v3, v8, v7 :: v_dual_add_f32 v6, v35, v37
	v_add_f32_e32 v2, v2, v21
	s_delay_alu instid0(VALU_DEP_3) | instskip(SKIP_1) | instid1(VALU_DEP_4)
	v_add_f32_e32 v4, v1, v4
	v_mul_lo_u16 v1, v30, 60
	v_add_f32_e32 v7, v3, v5
	v_dual_add_f32 v8, v0, v33 :: v_dual_add_f32 v3, v9, v24
	s_delay_alu instid0(VALU_DEP_3) | instskip(NEXT) | instid1(VALU_DEP_3)
	v_dual_add_f32 v6, v6, v34 :: v_dual_and_b32 v5, 0xffff, v1
	v_sub_f32_e32 v1, v4, v7
	v_lshlrev_b32_e32 v9, 3, v29
	v_add_f32_e32 v7, v4, v7
	s_delay_alu instid0(VALU_DEP_4) | instskip(SKIP_3) | instid1(VALU_DEP_3)
	v_sub_f32_e32 v0, v8, v6
	v_dual_add_f32 v5, v11, v23 :: v_dual_lshlrev_b32 v24, 3, v5
	v_add_f32_e32 v4, v10, v22
	v_add_f32_e32 v6, v8, v6
	v_add3_u32 v8, 0, v9, v24
	ds_store_2addr_b64 v8, v[6:7], v[4:5] offset1:10
	ds_store_2addr_b64 v8, v[2:3], v[0:1] offset0:20 offset1:30
	ds_store_2addr_b64 v8, v[17:18], v[19:20] offset0:40 offset1:50
.LBB0_17:
	s_wait_alu 0xfffe
	s_or_b32 exec_lo, exec_lo, s1
	v_mul_lo_u16 v0, 0x89, v13
	global_wb scope:SCOPE_SE
	s_wait_dscnt 0x0
	s_barrier_signal -1
	s_barrier_wait -1
	global_inv scope:SCOPE_SE
	v_lshrrev_b16 v13, 13, v0
	v_cmp_gt_u32_e64 s0, 60, v12
	s_delay_alu instid0(VALU_DEP_2) | instskip(NEXT) | instid1(VALU_DEP_1)
	v_mul_lo_u16 v0, v13, 60
	v_sub_nc_u16 v0, v12, v0
	s_delay_alu instid0(VALU_DEP_1) | instskip(NEXT) | instid1(VALU_DEP_1)
	v_and_b32_e32 v37, 0xff, v0
	v_mul_u32_u24_e32 v0, 9, v37
	s_delay_alu instid0(VALU_DEP_1)
	v_lshlrev_b32_e32 v25, 3, v0
	s_clause 0x4
	global_load_b128 v[0:3], v25, s[4:5] offset:400
	global_load_b128 v[4:7], v25, s[4:5] offset:416
	;; [unrolled: 1-line block ×4, first 2 shown]
	global_load_b64 v[29:30], v25, s[4:5] offset:464
	v_add_nc_u32_e32 v25, 0xa00, v31
	ds_load_b64 v[45:46], v31
	ds_load_b64 v[47:48], v32
	v_add_nc_u32_e32 v33, 0x1600, v31
	v_add_nc_u32_e32 v38, 0x2000, v31
	;; [unrolled: 1-line block ×3, first 2 shown]
	ds_load_2addr_b64 v[25:28], v25 offset0:40 offset1:220
	v_add_nc_u32_e32 v52, 0x1800, v31
	ds_load_2addr_b64 v[33:36], v33 offset0:16 offset1:196
	s_wait_loadcnt_dscnt 0x401
	v_dual_mul_f32 v55, v1, v48 :: v_dual_mul_f32 v56, v3, v26
	v_mul_f32_e32 v3, v3, v25
	v_dual_mul_f32 v1, v1, v47 :: v_dual_lshlrev_b32 v50, 3, v37
	ds_load_2addr_b64 v[37:40], v38 offset0:56 offset1:236
	ds_load_2addr_b64 v[41:44], v41 offset0:32 offset1:212
	v_and_b32_e32 v13, 0xffff, v13
	s_wait_loadcnt_dscnt 0x302
	v_dual_mul_f32 v58, v7, v34 :: v_dual_add_nc_u32 v49, 0xb00, v31
	v_dual_fmac_f32 v56, v2, v25 :: v_dual_add_nc_u32 v51, 0x2400, v31
	s_wait_loadcnt 0x2
	v_mul_f32_e32 v59, v9, v36
	v_fmac_f32_e32 v55, v0, v47
	v_fma_f32 v47, v0, v48, -v1
	v_fma_f32 v0, v2, v26, -v3
	v_fmac_f32_e32 v58, v6, v33
	global_wb scope:SCOPE_SE
	s_wait_loadcnt_dscnt 0x0
	s_barrier_signal -1
	s_barrier_wait -1
	v_add_f32_e32 v26, v46, v0
	global_inv scope:SCOPE_SE
	v_mul_f32_e32 v57, v5, v28
	v_mul_f32_e32 v5, v5, v27
	;; [unrolled: 1-line block ×3, first 2 shown]
	v_mul_u32_u24_e32 v13, 0x12c0, v13
	v_dual_mul_f32 v62, v42, v24 :: v_dual_mul_f32 v7, v7, v33
	v_dual_mul_f32 v24, v41, v24 :: v_dual_mul_f32 v61, v40, v22
	s_delay_alu instid0(VALU_DEP_3)
	v_add3_u32 v13, 0, v13, v50
	v_mul_f32_e32 v22, v39, v22
	v_mul_f32_e32 v63, v44, v30
	;; [unrolled: 1-line block ×3, first 2 shown]
	v_fmac_f32_e32 v60, v37, v10
	v_add_nc_u32_e32 v50, 0x400, v13
	v_add_nc_u32_e32 v53, 0x800, v13
	;; [unrolled: 1-line block ×3, first 2 shown]
	v_fmac_f32_e32 v62, v41, v23
	v_mul_f32_e32 v11, v37, v11
	v_fma_f32 v2, v6, v34, -v7
	v_fmac_f32_e32 v57, v4, v27
	v_fma_f32 v6, v42, v23, -v24
	v_mul_f32_e32 v9, v9, v35
	v_fma_f32 v1, v4, v28, -v5
	v_fma_f32 v5, v40, v21, -v22
	;; [unrolled: 1-line block ×3, first 2 shown]
	v_sub_f32_e32 v22, v62, v60
	v_fma_f32 v4, v38, v10, -v11
	v_sub_f32_e32 v10, v0, v6
	v_fma_f32 v3, v8, v36, -v9
	v_dual_add_f32 v9, v58, v60 :: v_dual_add_f32 v34, v0, v6
	v_dual_sub_f32 v24, v58, v56 :: v_dual_fmac_f32 v63, v43, v29
	v_sub_f32_e32 v30, v0, v2
	v_dual_sub_f32 v0, v2, v0 :: v_dual_fmac_f32 v59, v8, v35
	v_add_f32_e32 v36, v55, v57
	v_dual_add_f32 v8, v45, v56 :: v_dual_fmac_f32 v61, v39, v21
	v_sub_f32_e32 v28, v56, v62
	s_delay_alu instid0(VALU_DEP_4)
	v_dual_sub_f32 v21, v56, v58 :: v_dual_sub_f32 v40, v57, v59
	v_dual_add_f32 v23, v56, v62 :: v_dual_add_f32 v42, v57, v63
	v_dual_sub_f32 v11, v2, v4 :: v_dual_sub_f32 v38, v1, v7
	v_dual_sub_f32 v25, v60, v62 :: v_dual_sub_f32 v44, v61, v63
	v_dual_add_f32 v27, v2, v4 :: v_dual_add_f32 v48, v47, v1
	v_dual_sub_f32 v29, v58, v60 :: v_dual_add_f32 v56, v3, v5
	v_dual_sub_f32 v33, v6, v4 :: v_dual_sub_f32 v64, v59, v61
	v_dual_sub_f32 v35, v4, v6 :: v_dual_sub_f32 v66, v7, v5
	v_dual_add_f32 v37, v59, v61 :: v_dual_sub_f32 v68, v5, v7
	v_dual_sub_f32 v39, v3, v5 :: v_dual_add_f32 v8, v8, v58
	v_fma_f32 v58, -0.5, v9, v45
	v_add_f32_e32 v9, v21, v22
	v_fma_f32 v21, -0.5, v23, v45
	v_dual_sub_f32 v41, v63, v61 :: v_dual_add_f32 v2, v26, v2
	v_sub_f32_e32 v43, v59, v57
	v_dual_sub_f32 v57, v57, v63 :: v_dual_add_f32 v22, v24, v25
	s_delay_alu instid0(VALU_DEP_3)
	v_dual_sub_f32 v65, v1, v3 :: v_dual_add_f32 v26, v40, v41
	v_dual_add_f32 v67, v1, v7 :: v_dual_add_f32 v8, v8, v60
	v_dual_sub_f32 v1, v3, v1 :: v_dual_add_f32 v0, v0, v35
	v_fma_f32 v45, -0.5, v27, v46
	v_dual_add_f32 v23, v30, v33 :: v_dual_fmac_f32 v46, -0.5, v34
	v_fma_f32 v25, -0.5, v37, v55
	v_dual_fmac_f32 v55, -0.5, v42 :: v_dual_fmamk_f32 v34, v10, 0xbf737871, v58
	v_dual_add_f32 v3, v48, v3 :: v_dual_add_f32 v2, v2, v4
	v_fma_f32 v30, -0.5, v56, v47
	v_dual_fmac_f32 v58, 0x3f737871, v10 :: v_dual_fmamk_f32 v35, v11, 0x3f737871, v21
	v_dual_add_f32 v8, v8, v62 :: v_dual_fmac_f32 v21, 0xbf737871, v11
	v_add_f32_e32 v24, v36, v59
	v_fmamk_f32 v40, v39, 0x3f737871, v55
	v_dual_add_f32 v3, v3, v5 :: v_dual_fmac_f32 v34, 0xbf167918, v11
	v_fmamk_f32 v5, v57, 0x3f737871, v30
	v_fmac_f32_e32 v30, 0xbf737871, v57
	v_dual_fmac_f32 v58, 0x3f167918, v11 :: v_dual_fmac_f32 v21, 0x3f167918, v10
	v_dual_add_f32 v27, v43, v44 :: v_dual_fmamk_f32 v36, v28, 0x3f737871, v45
	v_add_f32_e32 v33, v65, v66
	v_dual_fmac_f32 v47, -0.5, v67 :: v_dual_add_f32 v4, v24, v61
	v_dual_add_f32 v1, v1, v68 :: v_dual_fmamk_f32 v24, v38, 0xbf737871, v25
	v_dual_fmac_f32 v45, 0xbf737871, v28 :: v_dual_add_f32 v6, v2, v6
	s_delay_alu instid0(VALU_DEP_3) | instskip(SKIP_3) | instid1(VALU_DEP_3)
	v_dual_fmamk_f32 v37, v29, 0xbf737871, v46 :: v_dual_add_f32 v2, v4, v63
	v_fmac_f32_e32 v46, 0x3f737871, v29
	v_dual_fmac_f32 v58, 0x3e9e377a, v9 :: v_dual_fmac_f32 v21, 0x3e9e377a, v22
	v_fmac_f32_e32 v5, 0x3f167918, v64
	v_dual_fmac_f32 v35, 0xbf167918, v10 :: v_dual_fmac_f32 v46, 0xbf167918, v28
	v_dual_fmac_f32 v45, 0xbf167918, v29 :: v_dual_fmac_f32 v24, 0xbf167918, v39
	s_delay_alu instid0(VALU_DEP_3) | instskip(SKIP_1) | instid1(VALU_DEP_4)
	v_fmac_f32_e32 v5, 0x3e9e377a, v33
	v_dual_fmac_f32 v36, 0x3f167918, v29 :: v_dual_fmac_f32 v37, 0x3f167918, v28
	v_dual_fmac_f32 v34, 0x3e9e377a, v9 :: v_dual_fmac_f32 v35, 0x3e9e377a, v22
	s_delay_alu instid0(VALU_DEP_4)
	v_dual_fmac_f32 v45, 0x3e9e377a, v23 :: v_dual_fmac_f32 v46, 0x3e9e377a, v0
	v_fmac_f32_e32 v24, 0x3e9e377a, v26
	v_mul_f32_e32 v22, 0xbf167918, v5
	v_fmac_f32_e32 v55, 0xbf737871, v39
	v_dual_fmac_f32 v36, 0x3e9e377a, v23 :: v_dual_fmac_f32 v37, 0x3e9e377a, v0
	v_add_f32_e32 v0, v8, v2
	v_sub_f32_e32 v2, v8, v2
	v_fmac_f32_e32 v22, 0x3f4f1bbd, v24
	v_fmamk_f32 v41, v64, 0xbf737871, v47
	v_fmac_f32_e32 v47, 0x3f737871, v64
	v_fmac_f32_e32 v30, 0xbf167918, v64
	v_dual_fmac_f32 v40, 0xbf167918, v38 :: v_dual_add_f32 v3, v3, v7
	s_delay_alu instid0(VALU_DEP_3) | instskip(NEXT) | instid1(VALU_DEP_3)
	v_fmac_f32_e32 v47, 0xbf167918, v57
	v_fmac_f32_e32 v30, 0x3e9e377a, v33
	s_delay_alu instid0(VALU_DEP_2) | instskip(NEXT) | instid1(VALU_DEP_2)
	v_dual_fmac_f32 v40, 0x3e9e377a, v27 :: v_dual_fmac_f32 v47, 0x3e9e377a, v1
	v_mul_f32_e32 v28, 0xbf167918, v30
	v_mul_f32_e32 v30, 0xbf4f1bbd, v30
	v_fmac_f32_e32 v55, 0x3f167918, v38
	s_delay_alu instid0(VALU_DEP_1) | instskip(SKIP_2) | instid1(VALU_DEP_1)
	v_fmac_f32_e32 v55, 0x3e9e377a, v27
	v_fmac_f32_e32 v25, 0x3f737871, v38
	v_mul_f32_e32 v38, 0xbe9e377a, v47
	v_fmac_f32_e32 v38, 0x3f737871, v55
	s_delay_alu instid0(VALU_DEP_3) | instskip(NEXT) | instid1(VALU_DEP_2)
	v_fmac_f32_e32 v25, 0x3f167918, v39
	v_add_f32_e32 v9, v46, v38
	s_delay_alu instid0(VALU_DEP_2) | instskip(NEXT) | instid1(VALU_DEP_1)
	v_fmac_f32_e32 v25, 0x3e9e377a, v26
	v_fmac_f32_e32 v30, 0x3f167918, v25
	s_delay_alu instid0(VALU_DEP_1) | instskip(SKIP_3) | instid1(VALU_DEP_4)
	v_dual_add_f32 v11, v45, v30 :: v_dual_fmac_f32 v28, 0xbf4f1bbd, v25
	v_sub_f32_e32 v23, v34, v22
	v_dual_add_f32 v4, v34, v22 :: v_dual_fmac_f32 v41, 0x3f167918, v57
	v_sub_f32_e32 v22, v45, v30
	v_dual_add_f32 v10, v58, v28 :: v_dual_mul_f32 v27, 0xbf737871, v47
	s_delay_alu instid0(VALU_DEP_3) | instskip(SKIP_1) | instid1(VALU_DEP_3)
	v_fmac_f32_e32 v41, 0x3e9e377a, v1
	v_add_f32_e32 v1, v6, v3
	v_fmac_f32_e32 v27, 0xbe9e377a, v55
	s_delay_alu instid0(VALU_DEP_1) | instskip(SKIP_4) | instid1(VALU_DEP_1)
	v_add_f32_e32 v8, v21, v27
	v_sub_f32_e32 v27, v21, v27
	v_sub_f32_e32 v21, v58, v28
	;; [unrolled: 1-line block ×3, first 2 shown]
	v_dual_sub_f32 v3, v6, v3 :: v_dual_mul_f32 v26, 0xbf737871, v41
	v_dual_mul_f32 v33, 0x3e9e377a, v41 :: v_dual_fmac_f32 v26, 0x3e9e377a, v40
	v_mul_f32_e32 v29, 0x3f4f1bbd, v5
	s_delay_alu instid0(VALU_DEP_2) | instskip(NEXT) | instid1(VALU_DEP_2)
	v_dual_fmac_f32 v33, 0x3f737871, v40 :: v_dual_add_f32 v6, v35, v26
	v_fmac_f32_e32 v29, 0x3f167918, v24
	s_delay_alu instid0(VALU_DEP_2) | instskip(SKIP_1) | instid1(VALU_DEP_3)
	v_add_f32_e32 v7, v37, v33
	v_dual_sub_f32 v25, v35, v26 :: v_dual_sub_f32 v26, v37, v33
	v_add_f32_e32 v5, v36, v29
	v_sub_f32_e32 v24, v36, v29
	ds_store_2addr_b64 v13, v[0:1], v[4:5] offset1:60
	ds_store_2addr_b64 v13, v[6:7], v[8:9] offset0:120 offset1:180
	ds_store_2addr_b64 v50, v[10:11], v[2:3] offset0:112 offset1:172
	;; [unrolled: 1-line block ×4, first 2 shown]
	global_wb scope:SCOPE_SE
	s_wait_dscnt 0x0
	s_barrier_signal -1
	s_barrier_wait -1
	global_inv scope:SCOPE_SE
	ds_load_2addr_b64 v[0:3], v49 offset0:8 offset1:248
	ds_load_2addr_b64 v[4:7], v51 offset0:48 offset1:228
	ds_load_b64 v[29:30], v31 offset:12480
	ds_load_b64 v[25:26], v31
	ds_load_b64 v[23:24], v32
	ds_load_2addr_b64 v[8:11], v52 offset0:12 offset1:192
	s_and_saveexec_b32 s1, s0
	s_cbranch_execz .LBB0_19
; %bb.18:
	ds_load_b64 v[21:22], v31 offset:4320
	ds_load_b64 v[17:18], v31 offset:9120
	;; [unrolled: 1-line block ×3, first 2 shown]
.LBB0_19:
	s_wait_alu 0xfffe
	s_or_b32 exec_lo, exec_lo, s1
	v_dual_mov_b32 v28, 0 :: v_dual_lshlrev_b32 v27, 1, v12
	s_delay_alu instid0(VALU_DEP_1) | instskip(NEXT) | instid1(VALU_DEP_2)
	v_dual_mov_b32 v36, v28 :: v_dual_lshlrev_b32 v35, 1, v16
	v_lshlrev_b64_e32 v[33:34], 3, v[27:28]
	s_delay_alu instid0(VALU_DEP_2) | instskip(NEXT) | instid1(VALU_DEP_2)
	v_lshlrev_b64_e32 v[37:38], 3, v[35:36]
	v_add_co_u32 v33, s1, s4, v33
	s_wait_alu 0xf1ff
	s_delay_alu instid0(VALU_DEP_3) | instskip(NEXT) | instid1(VALU_DEP_3)
	v_add_co_ci_u32_e64 v34, s1, s5, v34, s1
	v_add_co_u32 v37, s1, s4, v37
	s_wait_alu 0xf1ff
	v_add_co_ci_u32_e64 v38, s1, s5, v38, s1
	global_load_b128 v[33:36], v[33:34], off offset:4720
	v_add_nc_u32_e32 v27, 0x2d0, v27
	s_delay_alu instid0(VALU_DEP_1) | instskip(NEXT) | instid1(VALU_DEP_1)
	v_lshlrev_b64_e32 v[39:40], 3, v[27:28]
	v_add_co_u32 v41, s1, s4, v39
	s_wait_alu 0xf1ff
	s_delay_alu instid0(VALU_DEP_2)
	v_add_co_ci_u32_e64 v42, s1, s5, v40, s1
	s_clause 0x1
	global_load_b128 v[37:40], v[37:38], off offset:4720
	global_load_b128 v[41:44], v[41:42], off offset:4720
	global_wb scope:SCOPE_SE
	s_wait_loadcnt_dscnt 0x0
	s_barrier_signal -1
	s_barrier_wait -1
	global_inv scope:SCOPE_SE
	v_mul_f32_e32 v13, v34, v3
	v_dual_mul_f32 v27, v34, v2 :: v_dual_mul_f32 v34, v36, v5
	s_delay_alu instid0(VALU_DEP_2) | instskip(NEXT) | instid1(VALU_DEP_2)
	v_dual_mul_f32 v36, v36, v4 :: v_dual_fmac_f32 v13, v33, v2
	v_fmac_f32_e32 v34, v35, v4
	s_delay_alu instid0(VALU_DEP_3) | instskip(NEXT) | instid1(VALU_DEP_3)
	v_fma_f32 v2, v33, v3, -v27
	v_fma_f32 v3, v35, v5, -v36
	v_mul_f32_e32 v4, v38, v9
	v_dual_mul_f32 v5, v38, v8 :: v_dual_mul_f32 v38, v44, v30
	v_dual_mul_f32 v27, v40, v7 :: v_dual_mul_f32 v36, v42, v10
	s_delay_alu instid0(VALU_DEP_3) | instskip(SKIP_1) | instid1(VALU_DEP_4)
	v_dual_mul_f32 v33, v40, v6 :: v_dual_fmac_f32 v4, v37, v8
	v_dual_mul_f32 v35, v42, v11 :: v_dual_mul_f32 v40, v44, v29
	v_fma_f32 v5, v37, v9, -v5
	s_delay_alu instid0(VALU_DEP_4) | instskip(NEXT) | instid1(VALU_DEP_4)
	v_dual_fmac_f32 v27, v39, v6 :: v_dual_add_f32 v8, v25, v13
	v_fma_f32 v7, v39, v7, -v33
	s_delay_alu instid0(VALU_DEP_4)
	v_dual_fmac_f32 v35, v41, v10 :: v_dual_fmac_f32 v38, v43, v29
	v_fma_f32 v6, v41, v11, -v36
	v_fma_f32 v9, v43, v30, -v40
	v_dual_add_f32 v10, v13, v34 :: v_dual_sub_f32 v11, v2, v3
	v_dual_add_f32 v30, v2, v3 :: v_dual_sub_f32 v13, v13, v34
	v_add_f32_e32 v29, v26, v2
	v_add_f32_e32 v2, v8, v34
	s_delay_alu instid0(VALU_DEP_4) | instskip(NEXT) | instid1(VALU_DEP_4)
	v_fma_f32 v25, -0.5, v10, v25
	v_fmac_f32_e32 v26, -0.5, v30
	v_add_f32_e32 v8, v23, v4
	v_dual_add_f32 v10, v4, v27 :: v_dual_add_f32 v37, v35, v38
	v_dual_add_f32 v30, v24, v5 :: v_dual_add_f32 v33, v5, v7
	;; [unrolled: 1-line block ×3, first 2 shown]
	v_add_f32_e32 v3, v29, v3
	v_sub_f32_e32 v29, v5, v7
	v_dual_sub_f32 v34, v4, v27 :: v_dual_sub_f32 v39, v6, v9
	v_add_f32_e32 v40, v1, v6
	v_sub_f32_e32 v35, v35, v38
	v_dual_fmamk_f32 v5, v13, 0x3f5db3d7, v26 :: v_dual_add_f32 v6, v8, v27
	v_fmac_f32_e32 v26, 0xbf5db3d7, v13
	v_fma_f32 v23, -0.5, v10, v23
	v_dual_add_f32 v8, v36, v38 :: v_dual_fmac_f32 v1, -0.5, v41
	v_fmac_f32_e32 v24, -0.5, v33
	v_fma_f32 v0, -0.5, v37, v0
	v_dual_fmamk_f32 v4, v11, 0xbf5db3d7, v25 :: v_dual_add_f32 v7, v30, v7
	v_fmac_f32_e32 v25, 0x3f5db3d7, v11
	v_dual_add_f32 v9, v40, v9 :: v_dual_fmamk_f32 v10, v29, 0xbf5db3d7, v23
	v_fmamk_f32 v30, v35, 0x3f5db3d7, v1
	v_fmac_f32_e32 v1, 0xbf5db3d7, v35
	v_fmamk_f32 v11, v34, 0x3f5db3d7, v24
	v_fmac_f32_e32 v23, 0x3f5db3d7, v29
	v_fmac_f32_e32 v24, 0xbf5db3d7, v34
	v_fmamk_f32 v29, v39, 0xbf5db3d7, v0
	v_fmac_f32_e32 v0, 0x3f5db3d7, v39
	ds_store_b64 v31, v[2:3]
	ds_store_b64 v31, v[4:5] offset:4800
	ds_store_b64 v31, v[25:26] offset:9600
	ds_store_b64 v32, v[6:7]
	ds_store_b64 v32, v[10:11] offset:4800
	ds_store_b64 v32, v[23:24] offset:9600
	;; [unrolled: 1-line block ×5, first 2 shown]
	s_and_saveexec_b32 s1, s0
	s_cbranch_execz .LBB0_21
; %bb.20:
	v_mov_b32_e32 v0, 0x21c
	s_delay_alu instid0(VALU_DEP_1) | instskip(NEXT) | instid1(VALU_DEP_1)
	v_cndmask_b32_e64 v0, 0xffffffc4, v0, s0
	v_add_lshl_u32 v27, v12, v0, 1
	s_delay_alu instid0(VALU_DEP_1) | instskip(NEXT) | instid1(VALU_DEP_1)
	v_lshlrev_b64_e32 v[0:1], 3, v[27:28]
	v_add_co_u32 v0, s0, s4, v0
	s_wait_alu 0xf1ff
	s_delay_alu instid0(VALU_DEP_2) | instskip(SKIP_4) | instid1(VALU_DEP_2)
	v_add_co_ci_u32_e64 v1, s0, s5, v1, s0
	global_load_b128 v[0:3], v[0:1], off offset:4720
	s_wait_loadcnt 0x0
	v_dual_mul_f32 v5, v19, v3 :: v_dual_mul_f32 v4, v17, v1
	v_dual_mul_f32 v1, v18, v1 :: v_dual_mul_f32 v6, v20, v3
	v_fma_f32 v3, v18, v0, -v4
	s_delay_alu instid0(VALU_DEP_3) | instskip(NEXT) | instid1(VALU_DEP_3)
	v_fma_f32 v4, v20, v2, -v5
	v_dual_fmac_f32 v1, v17, v0 :: v_dual_fmac_f32 v6, v19, v2
	s_delay_alu instid0(VALU_DEP_2) | instskip(SKIP_1) | instid1(VALU_DEP_3)
	v_dual_add_f32 v5, v22, v3 :: v_dual_add_f32 v0, v3, v4
	v_sub_f32_e32 v9, v3, v4
	v_sub_f32_e32 v7, v1, v6
	v_add_f32_e32 v2, v1, v6
	v_add_f32_e32 v8, v21, v1
	v_fma_f32 v1, -0.5, v0, v22
	v_add_f32_e32 v3, v5, v4
	s_delay_alu instid0(VALU_DEP_4) | instskip(NEXT) | instid1(VALU_DEP_3)
	v_fma_f32 v0, -0.5, v2, v21
	v_dual_fmamk_f32 v5, v7, 0xbf5db3d7, v1 :: v_dual_add_f32 v2, v8, v6
	s_delay_alu instid0(VALU_DEP_2)
	v_dual_fmac_f32 v1, 0x3f5db3d7, v7 :: v_dual_fmamk_f32 v4, v9, 0x3f5db3d7, v0
	v_fmac_f32_e32 v0, 0xbf5db3d7, v9
	ds_store_b64 v31, v[2:3] offset:4320
	ds_store_b64 v31, v[0:1] offset:9120
	;; [unrolled: 1-line block ×3, first 2 shown]
.LBB0_21:
	s_wait_alu 0xfffe
	s_or_b32 exec_lo, exec_lo, s1
	global_wb scope:SCOPE_SE
	s_wait_dscnt 0x0
	s_barrier_signal -1
	s_barrier_wait -1
	global_inv scope:SCOPE_SE
	ds_load_b64 v[4:5], v31
	v_lshlrev_b32_e32 v0, 3, v12
	s_mov_b32 s1, exec_lo
                                        ; implicit-def: $vgpr2
                                        ; implicit-def: $vgpr7
                                        ; implicit-def: $vgpr8
	s_delay_alu instid0(VALU_DEP_1)
	v_sub_nc_u32_e32 v6, 0, v0
                                        ; implicit-def: $vgpr0_vgpr1
	v_cmpx_ne_u32_e32 0, v12
	s_wait_alu 0xfffe
	s_xor_b32 s1, exec_lo, s1
	s_cbranch_execz .LBB0_23
; %bb.22:
	ds_load_b64 v[2:3], v6 offset:14400
	s_wait_dscnt 0x0
	v_dual_mov_b32 v13, 0 :: v_dual_add_f32 v8, v3, v5
	s_delay_alu instid0(VALU_DEP_1) | instskip(SKIP_2) | instid1(VALU_DEP_2)
	v_lshlrev_b64_e32 v[0:1], 3, v[12:13]
	v_dual_sub_f32 v7, v4, v2 :: v_dual_add_f32 v2, v2, v4
	v_sub_f32_e32 v3, v5, v3
	v_mul_f32_e32 v5, 0.5, v7
	s_delay_alu instid0(VALU_DEP_4)
	v_add_co_u32 v0, s0, s4, v0
	s_wait_alu 0xf1ff
	v_add_co_ci_u32_e64 v1, s0, s5, v1, s0
	v_mul_f32_e32 v3, 0.5, v3
	global_load_b64 v[0:1], v[0:1], off offset:14320
	s_wait_loadcnt 0x0
	v_dual_mul_f32 v9, 0.5, v8 :: v_dual_mul_f32 v4, v1, v5
	s_delay_alu instid0(VALU_DEP_1) | instskip(SKIP_1) | instid1(VALU_DEP_3)
	v_fma_f32 v8, v9, v1, v3
	v_fma_f32 v1, v9, v1, -v3
	v_fma_f32 v7, 0.5, v2, v4
	v_fma_f32 v2, v2, 0.5, -v4
	s_delay_alu instid0(VALU_DEP_4) | instskip(NEXT) | instid1(VALU_DEP_4)
	v_fma_f32 v8, -v0, v5, v8
	v_fma_f32 v3, -v0, v5, v1
                                        ; implicit-def: $vgpr4_vgpr5
	s_delay_alu instid0(VALU_DEP_4) | instskip(NEXT) | instid1(VALU_DEP_4)
	v_fmac_f32_e32 v7, v0, v9
	v_fma_f32 v2, -v0, v9, v2
	v_dual_mov_b32 v0, v12 :: v_dual_mov_b32 v1, v13
.LBB0_23:
	s_wait_alu 0xfffe
	s_and_not1_saveexec_b32 s0, s1
	s_cbranch_execz .LBB0_25
; %bb.24:
	s_wait_dscnt 0x0
	v_dual_mov_b32 v8, 0 :: v_dual_add_f32 v7, v4, v5
	v_dual_sub_f32 v2, v4, v5 :: v_dual_mov_b32 v3, 0
	ds_load_b32 v0, v8 offset:7204
	s_wait_dscnt 0x0
	v_xor_b32_e32 v4, 0x80000000, v0
	v_mov_b32_e32 v0, 0
	v_mov_b32_e32 v1, 0
	ds_store_b32 v8, v4 offset:7204
.LBB0_25:
	s_wait_alu 0xfffe
	s_or_b32 exec_lo, exec_lo, s0
	v_mov_b32_e32 v17, 0
	v_lshlrev_b64_e32 v[0:1], 3, v[0:1]
	s_wait_dscnt 0x0
	s_delay_alu instid0(VALU_DEP_2) | instskip(NEXT) | instid1(VALU_DEP_1)
	v_lshlrev_b64_e32 v[4:5], 3, v[16:17]
	v_add_co_u32 v4, s0, s4, v4
	s_wait_alu 0xf1ff
	s_delay_alu instid0(VALU_DEP_2)
	v_add_co_ci_u32_e64 v5, s0, s5, v5, s0
	s_add_nc_u64 s[0:1], s[4:5], 0x37f0
	s_wait_alu 0xfffe
	v_add_co_u32 v9, s0, s0, v0
	global_load_b64 v[4:5], v[4:5], off offset:14320
	s_wait_alu 0xf1ff
	v_add_co_ci_u32_e64 v10, s0, s1, v1, s0
	s_clause 0x2
	global_load_b64 v[16:17], v[9:10], off offset:2880
	global_load_b64 v[18:19], v[9:10], off offset:4320
	global_load_b64 v[9:10], v[9:10], off offset:5760
	ds_store_2addr_b32 v31, v7, v8 offset1:1
	ds_store_b64 v6, v[2:3] offset:14400
	ds_load_b64 v[2:3], v32
	ds_load_b64 v[7:8], v6 offset:12960
	s_wait_dscnt 0x0
	v_sub_f32_e32 v11, v2, v7
	v_dual_add_f32 v13, v3, v8 :: v_dual_add_f32 v2, v2, v7
	s_delay_alu instid0(VALU_DEP_2) | instskip(NEXT) | instid1(VALU_DEP_2)
	v_dual_sub_f32 v3, v3, v8 :: v_dual_mul_f32 v8, 0.5, v11
	v_mul_f32_e32 v11, 0.5, v13
	s_delay_alu instid0(VALU_DEP_2) | instskip(SKIP_1) | instid1(VALU_DEP_3)
	v_mul_f32_e32 v3, 0.5, v3
	s_wait_loadcnt 0x3
	v_mul_f32_e32 v7, v5, v8
	s_delay_alu instid0(VALU_DEP_2) | instskip(SKIP_1) | instid1(VALU_DEP_3)
	v_fma_f32 v13, v11, v5, v3
	v_fma_f32 v3, v11, v5, -v3
	v_fma_f32 v5, 0.5, v2, v7
	v_fma_f32 v2, v2, 0.5, -v7
	s_delay_alu instid0(VALU_DEP_4) | instskip(NEXT) | instid1(VALU_DEP_4)
	v_fma_f32 v7, -v4, v8, v13
	v_fma_f32 v3, -v4, v8, v3
	s_delay_alu instid0(VALU_DEP_4) | instskip(NEXT) | instid1(VALU_DEP_4)
	v_fmac_f32_e32 v5, v4, v11
	v_fma_f32 v2, -v4, v11, v2
	ds_store_2addr_b32 v32, v5, v7 offset1:1
	ds_store_b64 v6, v[2:3] offset:12960
	ds_load_b64 v[2:3], v31 offset:2880
	ds_load_b64 v[4:5], v6 offset:11520
	s_wait_dscnt 0x0
	v_dual_sub_f32 v7, v2, v4 :: v_dual_add_f32 v8, v3, v5
	v_dual_sub_f32 v3, v3, v5 :: v_dual_add_f32 v2, v2, v4
	s_delay_alu instid0(VALU_DEP_2) | instskip(NEXT) | instid1(VALU_DEP_3)
	v_mul_f32_e32 v5, 0.5, v7
	v_mul_f32_e32 v7, 0.5, v8
	s_wait_loadcnt 0x2
	s_delay_alu instid0(VALU_DEP_2) | instskip(NEXT) | instid1(VALU_DEP_1)
	v_dual_mul_f32 v3, 0.5, v3 :: v_dual_mul_f32 v4, v17, v5
	v_fma_f32 v8, v7, v17, v3
	v_fma_f32 v3, v7, v17, -v3
	s_delay_alu instid0(VALU_DEP_3)
	v_fma_f32 v11, 0.5, v2, v4
	v_fma_f32 v2, v2, 0.5, -v4
	v_add_nc_u32_e32 v4, 0x800, v31
	v_fma_f32 v8, -v16, v5, v8
	v_fma_f32 v3, -v16, v5, v3
	v_fmac_f32_e32 v11, v16, v7
	v_fma_f32 v2, -v16, v7, v2
	ds_store_2addr_b32 v4, v11, v8 offset0:208 offset1:209
	ds_store_b64 v6, v[2:3] offset:11520
	ds_load_b64 v[2:3], v31 offset:4320
	ds_load_b64 v[4:5], v6 offset:10080
	s_wait_dscnt 0x0
	v_dual_sub_f32 v7, v2, v4 :: v_dual_add_f32 v8, v3, v5
	v_dual_sub_f32 v3, v3, v5 :: v_dual_add_f32 v2, v2, v4
	s_delay_alu instid0(VALU_DEP_2) | instskip(NEXT) | instid1(VALU_DEP_3)
	v_mul_f32_e32 v5, 0.5, v7
	v_mul_f32_e32 v7, 0.5, v8
	s_wait_loadcnt 0x1
	s_delay_alu instid0(VALU_DEP_2) | instskip(NEXT) | instid1(VALU_DEP_1)
	v_dual_mul_f32 v3, 0.5, v3 :: v_dual_mul_f32 v4, v19, v5
	v_fma_f32 v8, v7, v19, v3
	v_fma_f32 v3, v7, v19, -v3
	s_delay_alu instid0(VALU_DEP_3)
	v_fma_f32 v11, 0.5, v2, v4
	v_fma_f32 v2, v2, 0.5, -v4
	v_add_nc_u32_e32 v4, 0x1000, v31
	v_fma_f32 v8, -v18, v5, v8
	v_fma_f32 v3, -v18, v5, v3
	v_fmac_f32_e32 v11, v18, v7
	v_fma_f32 v2, -v18, v7, v2
	ds_store_2addr_b32 v4, v11, v8 offset0:56 offset1:57
	;; [unrolled: 23-line block ×3, first 2 shown]
	ds_store_b64 v6, v[2:3] offset:8640
	global_wb scope:SCOPE_SE
	s_wait_dscnt 0x0
	s_barrier_signal -1
	s_barrier_wait -1
	global_inv scope:SCOPE_SE
	s_and_saveexec_b32 s0, vcc_lo
	s_cbranch_execz .LBB0_28
; %bb.26:
	v_add_nc_u32_e32 v2, 0xa00, v31
	v_add_nc_u32_e32 v3, 0x1600, v31
	;; [unrolled: 1-line block ×4, first 2 shown]
	ds_load_2addr_b64 v[4:7], v31 offset1:180
	ds_load_2addr_b64 v[8:11], v2 offset0:40 offset1:220
	ds_load_2addr_b64 v[16:19], v3 offset0:16 offset1:196
	ds_load_2addr_b64 v[20:23], v13 offset0:56 offset1:236
	ds_load_2addr_b64 v[24:27], v24 offset0:32 offset1:212
	v_add_co_u32 v2, vcc_lo, s8, v14
	s_wait_alu 0xfffd
	v_add_co_ci_u32_e32 v3, vcc_lo, s9, v15, vcc_lo
	s_delay_alu instid0(VALU_DEP_2) | instskip(SKIP_1) | instid1(VALU_DEP_2)
	v_add_co_u32 v0, vcc_lo, v2, v0
	s_wait_alu 0xfffd
	v_add_co_ci_u32_e32 v1, vcc_lo, v3, v1, vcc_lo
	v_cmp_eq_u32_e32 vcc_lo, 0xb3, v12
	s_wait_dscnt 0x4
	s_clause 0x1
	global_store_b64 v[0:1], v[4:5], off
	global_store_b64 v[0:1], v[6:7], off offset:1440
	s_wait_dscnt 0x3
	s_clause 0x1
	global_store_b64 v[0:1], v[8:9], off offset:2880
	global_store_b64 v[0:1], v[10:11], off offset:4320
	s_wait_dscnt 0x2
	s_clause 0x1
	global_store_b64 v[0:1], v[16:17], off offset:5760
	;; [unrolled: 4-line block ×4, first 2 shown]
	global_store_b64 v[0:1], v[26:27], off offset:12960
	s_and_b32 exec_lo, exec_lo, vcc_lo
	s_cbranch_execz .LBB0_28
; %bb.27:
	v_mov_b32_e32 v0, 0
	ds_load_b64 v[0:1], v0 offset:14400
	s_wait_dscnt 0x0
	global_store_b64 v[2:3], v[0:1], off offset:14400
.LBB0_28:
	s_nop 0
	s_sendmsg sendmsg(MSG_DEALLOC_VGPRS)
	s_endpgm
	.section	.rodata,"a",@progbits
	.p2align	6, 0x0
	.amdhsa_kernel fft_rtc_back_len1800_factors_10_6_10_3_wgs_180_tpt_180_halfLds_sp_ip_CI_unitstride_sbrr_R2C_dirReg
		.amdhsa_group_segment_fixed_size 0
		.amdhsa_private_segment_fixed_size 0
		.amdhsa_kernarg_size 88
		.amdhsa_user_sgpr_count 2
		.amdhsa_user_sgpr_dispatch_ptr 0
		.amdhsa_user_sgpr_queue_ptr 0
		.amdhsa_user_sgpr_kernarg_segment_ptr 1
		.amdhsa_user_sgpr_dispatch_id 0
		.amdhsa_user_sgpr_private_segment_size 0
		.amdhsa_wavefront_size32 1
		.amdhsa_uses_dynamic_stack 0
		.amdhsa_enable_private_segment 0
		.amdhsa_system_sgpr_workgroup_id_x 1
		.amdhsa_system_sgpr_workgroup_id_y 0
		.amdhsa_system_sgpr_workgroup_id_z 0
		.amdhsa_system_sgpr_workgroup_info 0
		.amdhsa_system_vgpr_workitem_id 0
		.amdhsa_next_free_vgpr 69
		.amdhsa_next_free_sgpr 32
		.amdhsa_reserve_vcc 1
		.amdhsa_float_round_mode_32 0
		.amdhsa_float_round_mode_16_64 0
		.amdhsa_float_denorm_mode_32 3
		.amdhsa_float_denorm_mode_16_64 3
		.amdhsa_fp16_overflow 0
		.amdhsa_workgroup_processor_mode 1
		.amdhsa_memory_ordered 1
		.amdhsa_forward_progress 0
		.amdhsa_round_robin_scheduling 0
		.amdhsa_exception_fp_ieee_invalid_op 0
		.amdhsa_exception_fp_denorm_src 0
		.amdhsa_exception_fp_ieee_div_zero 0
		.amdhsa_exception_fp_ieee_overflow 0
		.amdhsa_exception_fp_ieee_underflow 0
		.amdhsa_exception_fp_ieee_inexact 0
		.amdhsa_exception_int_div_zero 0
	.end_amdhsa_kernel
	.text
.Lfunc_end0:
	.size	fft_rtc_back_len1800_factors_10_6_10_3_wgs_180_tpt_180_halfLds_sp_ip_CI_unitstride_sbrr_R2C_dirReg, .Lfunc_end0-fft_rtc_back_len1800_factors_10_6_10_3_wgs_180_tpt_180_halfLds_sp_ip_CI_unitstride_sbrr_R2C_dirReg
                                        ; -- End function
	.section	.AMDGPU.csdata,"",@progbits
; Kernel info:
; codeLenInByte = 8028
; NumSgprs: 34
; NumVgprs: 69
; ScratchSize: 0
; MemoryBound: 0
; FloatMode: 240
; IeeeMode: 1
; LDSByteSize: 0 bytes/workgroup (compile time only)
; SGPRBlocks: 4
; VGPRBlocks: 8
; NumSGPRsForWavesPerEU: 34
; NumVGPRsForWavesPerEU: 69
; Occupancy: 15
; WaveLimiterHint : 1
; COMPUTE_PGM_RSRC2:SCRATCH_EN: 0
; COMPUTE_PGM_RSRC2:USER_SGPR: 2
; COMPUTE_PGM_RSRC2:TRAP_HANDLER: 0
; COMPUTE_PGM_RSRC2:TGID_X_EN: 1
; COMPUTE_PGM_RSRC2:TGID_Y_EN: 0
; COMPUTE_PGM_RSRC2:TGID_Z_EN: 0
; COMPUTE_PGM_RSRC2:TIDIG_COMP_CNT: 0
	.text
	.p2alignl 7, 3214868480
	.fill 96, 4, 3214868480
	.type	__hip_cuid_825ddf4e7610c211,@object ; @__hip_cuid_825ddf4e7610c211
	.section	.bss,"aw",@nobits
	.globl	__hip_cuid_825ddf4e7610c211
__hip_cuid_825ddf4e7610c211:
	.byte	0                               ; 0x0
	.size	__hip_cuid_825ddf4e7610c211, 1

	.ident	"AMD clang version 19.0.0git (https://github.com/RadeonOpenCompute/llvm-project roc-6.4.0 25133 c7fe45cf4b819c5991fe208aaa96edf142730f1d)"
	.section	".note.GNU-stack","",@progbits
	.addrsig
	.addrsig_sym __hip_cuid_825ddf4e7610c211
	.amdgpu_metadata
---
amdhsa.kernels:
  - .args:
      - .actual_access:  read_only
        .address_space:  global
        .offset:         0
        .size:           8
        .value_kind:     global_buffer
      - .offset:         8
        .size:           8
        .value_kind:     by_value
      - .actual_access:  read_only
        .address_space:  global
        .offset:         16
        .size:           8
        .value_kind:     global_buffer
      - .actual_access:  read_only
        .address_space:  global
        .offset:         24
        .size:           8
        .value_kind:     global_buffer
      - .offset:         32
        .size:           8
        .value_kind:     by_value
      - .actual_access:  read_only
        .address_space:  global
        .offset:         40
        .size:           8
        .value_kind:     global_buffer
      - .actual_access:  read_only
        .address_space:  global
        .offset:         48
        .size:           8
        .value_kind:     global_buffer
      - .offset:         56
        .size:           4
        .value_kind:     by_value
      - .actual_access:  read_only
        .address_space:  global
        .offset:         64
        .size:           8
        .value_kind:     global_buffer
      - .actual_access:  read_only
        .address_space:  global
        .offset:         72
        .size:           8
        .value_kind:     global_buffer
      - .address_space:  global
        .offset:         80
        .size:           8
        .value_kind:     global_buffer
    .group_segment_fixed_size: 0
    .kernarg_segment_align: 8
    .kernarg_segment_size: 88
    .language:       OpenCL C
    .language_version:
      - 2
      - 0
    .max_flat_workgroup_size: 180
    .name:           fft_rtc_back_len1800_factors_10_6_10_3_wgs_180_tpt_180_halfLds_sp_ip_CI_unitstride_sbrr_R2C_dirReg
    .private_segment_fixed_size: 0
    .sgpr_count:     34
    .sgpr_spill_count: 0
    .symbol:         fft_rtc_back_len1800_factors_10_6_10_3_wgs_180_tpt_180_halfLds_sp_ip_CI_unitstride_sbrr_R2C_dirReg.kd
    .uniform_work_group_size: 1
    .uses_dynamic_stack: false
    .vgpr_count:     69
    .vgpr_spill_count: 0
    .wavefront_size: 32
    .workgroup_processor_mode: 1
amdhsa.target:   amdgcn-amd-amdhsa--gfx1201
amdhsa.version:
  - 1
  - 2
...

	.end_amdgpu_metadata
